;; amdgpu-corpus repo=ROCm/rocFFT kind=compiled arch=gfx950 opt=O3
	.text
	.amdgcn_target "amdgcn-amd-amdhsa--gfx950"
	.amdhsa_code_object_version 6
	.protected	bluestein_single_fwd_len441_dim1_dp_op_CI_CI ; -- Begin function bluestein_single_fwd_len441_dim1_dp_op_CI_CI
	.globl	bluestein_single_fwd_len441_dim1_dp_op_CI_CI
	.p2align	8
	.type	bluestein_single_fwd_len441_dim1_dp_op_CI_CI,@function
bluestein_single_fwd_len441_dim1_dp_op_CI_CI: ; @bluestein_single_fwd_len441_dim1_dp_op_CI_CI
; %bb.0:
	s_load_dwordx4 s[8:11], s[0:1], 0x28
	v_mul_u32_u24_e32 v1, 0x411, v0
	v_add_u32_sdwa v86, s2, v1 dst_sel:DWORD dst_unused:UNUSED_PAD src0_sel:DWORD src1_sel:WORD_1
	v_mov_b32_e32 v87, 0
	s_waitcnt lgkmcnt(0)
	v_cmp_gt_u64_e32 vcc, s[8:9], v[86:87]
	s_and_saveexec_b64 s[2:3], vcc
	s_cbranch_execz .LBB0_15
; %bb.1:
	s_load_dwordx2 s[8:9], s[0:1], 0x0
	s_load_dwordx2 s[12:13], s[0:1], 0x38
	v_mov_b32_e32 v2, 63
	v_mul_lo_u16_sdwa v1, v1, v2 dst_sel:DWORD dst_unused:UNUSED_PAD src0_sel:WORD_1 src1_sel:DWORD
	v_sub_u16_e32 v87, v0, v1
	v_cmp_gt_u16_e64 s[2:3], 49, v87
	v_lshlrev_b32_e32 v84, 4, v87
	s_and_saveexec_b64 s[14:15], s[2:3]
	s_cbranch_execz .LBB0_3
; %bb.2:
	s_load_dwordx2 s[4:5], s[0:1], 0x18
	v_mov_b32_e32 v0, s10
	v_mov_b32_e32 v1, s11
	;; [unrolled: 1-line block ×4, first 2 shown]
	s_waitcnt lgkmcnt(0)
	s_load_dwordx4 s[4:7], s[4:5], 0x0
	v_lshl_add_u64 v[44:45], s[8:9], 0, v[84:85]
	s_waitcnt lgkmcnt(0)
	v_mad_u64_u32 v[2:3], s[10:11], s6, v86, 0
	v_mad_u64_u32 v[4:5], s[10:11], s4, v87, 0
	v_mov_b32_e32 v6, v3
	v_mov_b32_e32 v8, v5
	v_mad_u64_u32 v[6:7], s[6:7], s7, v86, v[6:7]
	v_mov_b32_e32 v3, v6
	v_mad_u64_u32 v[6:7], s[6:7], s5, v87, v[8:9]
	v_mov_b32_e32 v5, v6
	v_lshl_add_u64 v[0:1], v[2:3], 4, v[0:1]
	v_lshl_add_u64 v[28:29], v[4:5], 4, v[0:1]
	s_mul_i32 s11, s5, 0x310
	v_mad_u64_u32 v[32:33], s[6:7], s4, v72, v[28:29]
	global_load_dwordx4 v[0:3], v84, s[8:9]
	global_load_dwordx4 v[4:7], v[28:29], off
	v_add_u32_e32 v33, s11, v33
	global_load_dwordx4 v[8:11], v84, s[8:9] offset:784
	global_load_dwordx4 v[12:15], v84, s[8:9] offset:1568
	;; [unrolled: 1-line block ×5, first 2 shown]
	global_load_dwordx4 v[28:31], v[32:33], off
	v_mad_u64_u32 v[36:37], s[6:7], s4, v72, v[32:33]
	v_add_u32_e32 v37, s11, v37
	global_load_dwordx4 v[32:35], v[36:37], off
	v_mad_u64_u32 v[36:37], s[6:7], s4, v72, v[36:37]
	v_add_u32_e32 v37, s11, v37
	v_mad_u64_u32 v[46:47], s[6:7], s4, v72, v[36:37]
	global_load_dwordx4 v[36:39], v[36:37], off
	v_add_u32_e32 v47, s11, v47
	global_load_dwordx4 v[40:43], v[46:47], off
	s_movk_i32 s10, 0x1000
	v_mad_u64_u32 v[48:49], s[6:7], s4, v72, v[46:47]
	v_add_co_u32_e32 v68, vcc, s10, v44
	v_add_u32_e32 v49, s11, v49
	s_nop 0
	v_addc_co_u32_e32 v69, vcc, 0, v45, vcc
	global_load_dwordx4 v[44:47], v[48:49], off
	v_mad_u64_u32 v[60:61], s[6:7], s4, v72, v[48:49]
	v_add_u32_e32 v61, s11, v61
	v_mad_u64_u32 v[70:71], s[6:7], s4, v72, v[60:61]
	global_load_dwordx4 v[48:51], v[60:61], off
	global_load_dwordx4 v[52:55], v[68:69], off offset:608
	global_load_dwordx4 v[56:59], v[68:69], off offset:1392
	v_add_u32_e32 v71, s11, v71
	global_load_dwordx4 v[60:63], v[70:71], off
	global_load_dwordx4 v[64:67], v[68:69], off offset:2176
	v_mad_u64_u32 v[68:69], s[4:5], s4, v72, v[70:71]
	v_add_u32_e32 v69, s11, v69
	global_load_dwordx4 v[68:71], v[68:69], off
	s_waitcnt vmcnt(16)
	v_mul_f64 v[74:75], v[4:5], v[2:3]
	v_mul_f64 v[72:73], v[6:7], v[2:3]
	v_fma_f64 v[74:75], v[6:7], v[0:1], -v[74:75]
	v_fmac_f64_e32 v[72:73], v[4:5], v[0:1]
	s_waitcnt vmcnt(10)
	v_mul_f64 v[0:1], v[30:31], v[10:11]
	v_mul_f64 v[2:3], v[28:29], v[10:11]
	v_fmac_f64_e32 v[0:1], v[28:29], v[8:9]
	v_fma_f64 v[2:3], v[30:31], v[8:9], -v[2:3]
	ds_write_b128 v84, v[0:3] offset:784
	s_waitcnt vmcnt(9)
	v_mul_f64 v[0:1], v[34:35], v[14:15]
	v_mul_f64 v[2:3], v[32:33], v[14:15]
	v_fmac_f64_e32 v[0:1], v[32:33], v[12:13]
	v_fma_f64 v[2:3], v[34:35], v[12:13], -v[2:3]
	ds_write_b128 v84, v[0:3] offset:1568
	;; [unrolled: 6-line block ×7, first 2 shown]
	s_waitcnt vmcnt(0)
	v_mul_f64 v[0:1], v[70:71], v[66:67]
	v_mul_f64 v[2:3], v[68:69], v[66:67]
	v_fmac_f64_e32 v[0:1], v[68:69], v[64:65]
	v_fma_f64 v[2:3], v[70:71], v[64:65], -v[2:3]
	ds_write_b128 v84, v[72:75]
	ds_write_b128 v84, v[0:3] offset:6272
.LBB0_3:
	s_or_b64 exec, exec, s[14:15]
	s_load_dwordx2 s[4:5], s[0:1], 0x20
	s_load_dwordx2 s[10:11], s[0:1], 0x8
	s_waitcnt lgkmcnt(0)
	; wave barrier
	s_waitcnt lgkmcnt(0)
                                        ; implicit-def: $vgpr0_vgpr1
                                        ; implicit-def: $vgpr12_vgpr13
                                        ; implicit-def: $vgpr16_vgpr17
                                        ; implicit-def: $vgpr20_vgpr21
                                        ; implicit-def: $vgpr4_vgpr5
                                        ; implicit-def: $vgpr8_vgpr9
                                        ; implicit-def: $vgpr24_vgpr25
                                        ; implicit-def: $vgpr28_vgpr29
                                        ; implicit-def: $vgpr32_vgpr33
	s_and_saveexec_b64 s[0:1], s[2:3]
	s_cbranch_execz .LBB0_5
; %bb.4:
	ds_read_b128 v[0:3], v84
	ds_read_b128 v[12:15], v84 offset:784
	ds_read_b128 v[16:19], v84 offset:1568
	;; [unrolled: 1-line block ×8, first 2 shown]
.LBB0_5:
	s_or_b64 exec, exec, s[0:1]
	s_mov_b32 s20, 0xa2cf5039
	s_waitcnt lgkmcnt(0)
	v_add_f64 v[44:45], v[12:13], v[32:33]
	v_add_f64 v[48:49], v[14:15], v[34:35]
	v_add_f64 v[38:39], v[12:13], -v[32:33]
	v_add_f64 v[32:33], v[14:15], -v[34:35]
	s_mov_b32 s15, 0x3fe491b7
	s_mov_b32 s14, 0x523c161c
	;; [unrolled: 1-line block ×5, first 2 shown]
	v_add_f64 v[46:47], v[16:17], v[28:29]
	v_add_f64 v[50:51], v[18:19], v[30:31]
	v_add_f64 v[40:41], v[16:17], -v[28:29]
	v_add_f64 v[34:35], v[18:19], -v[30:31]
	s_mov_b32 s0, 0xe8584cab
	v_mul_f64 v[16:17], v[38:39], s[14:15]
	v_mul_f64 v[18:19], v[32:33], s[14:15]
	s_mov_b32 s17, 0x3fef838b
	v_fma_f64 v[12:13], s[20:21], v[44:45], v[0:1]
	v_fma_f64 v[14:15], s[20:21], v[48:49], v[2:3]
	s_mov_b32 s25, 0x3fc63a1a
	v_add_f64 v[36:37], v[20:21], v[24:25]
	v_add_f64 v[42:43], v[22:23], v[26:27]
	v_add_f64 v[56:57], v[20:21], -v[24:25]
	v_add_f64 v[58:59], v[22:23], -v[26:27]
	s_mov_b32 s1, 0x3febb67a
	v_fmac_f64_e32 v[16:17], s[16:17], v[40:41]
	v_fmac_f64_e32 v[18:19], s[16:17], v[34:35]
	s_mov_b32 s18, 0x748a0bf8
	v_fmac_f64_e32 v[12:13], s[24:25], v[46:47]
	v_fmac_f64_e32 v[14:15], s[24:25], v[50:51]
	;; [unrolled: 3-line block ×3, first 2 shown]
	v_add_f64 v[22:23], v[4:5], -v[8:9]
	v_add_f64 v[20:21], v[6:7], -v[10:11]
	s_mov_b32 s19, 0x3fd5e3a8
	v_fmac_f64_e32 v[12:13], -0.5, v[36:37]
	v_fmac_f64_e32 v[14:15], -0.5, v[42:43]
	v_add_f64 v[52:53], v[4:5], v[8:9]
	v_add_f64 v[54:55], v[6:7], v[10:11]
	s_mov_b32 s27, 0xbfee11f6
	v_fmac_f64_e32 v[16:17], s[18:19], v[22:23]
	v_fmac_f64_e32 v[18:19], s[18:19], v[20:21]
	;; [unrolled: 1-line block ×4, first 2 shown]
	v_add_f64 v[12:13], v[18:19], v[12:13]
	v_add_f64 v[14:15], v[14:15], -v[16:17]
	v_fma_f64 v[24:25], -2.0, v[18:19], v[12:13]
	v_fma_f64 v[26:27], 2.0, v[16:17], v[14:15]
	v_mul_f64 v[16:17], v[22:23], s[14:15]
	v_mul_f64 v[18:19], v[20:21], s[14:15]
	v_fma_f64 v[30:31], v[38:39], s[16:17], -v[16:17]
	v_fma_f64 v[28:29], v[32:33], s[16:17], -v[18:19]
	v_fma_f64 v[16:17], s[20:21], v[52:53], v[0:1]
	v_fma_f64 v[18:19], s[20:21], v[54:55], v[2:3]
	s_mov_b32 s23, 0xbfebb67a
	s_mov_b32 s22, s0
	v_fmac_f64_e32 v[16:17], s[24:25], v[44:45]
	v_fmac_f64_e32 v[18:19], s[24:25], v[48:49]
	;; [unrolled: 1-line block ×4, first 2 shown]
	v_fmac_f64_e32 v[16:17], -0.5, v[36:37]
	v_fmac_f64_e32 v[18:19], -0.5, v[42:43]
	v_fmac_f64_e32 v[30:31], s[18:19], v[40:41]
	v_fmac_f64_e32 v[28:29], s[18:19], v[34:35]
	;; [unrolled: 1-line block ×4, first 2 shown]
	v_add_f64 v[16:17], v[16:17], v[28:29]
	v_add_f64 v[18:19], v[18:19], -v[30:31]
	v_fma_f64 v[28:29], -2.0, v[28:29], v[16:17]
	v_fma_f64 v[30:31], 2.0, v[30:31], v[18:19]
	v_mul_lo_u16_e32 v90, 9, v87
	s_waitcnt lgkmcnt(0)
	; wave barrier
	s_and_saveexec_b64 s[6:7], s[2:3]
	s_cbranch_execz .LBB0_7
; %bb.6:
	v_mul_f64 v[62:63], v[22:23], s[16:17]
	s_mov_b32 s15, 0xbfe491b7
	v_mul_f64 v[56:57], v[56:57], s[0:1]
	v_fma_f64 v[62:63], v[40:41], s[14:15], -v[62:63]
	v_add_f64 v[56:57], v[56:57], v[62:63]
	v_fma_f64 v[62:63], s[20:21], v[50:51], v[2:3]
	v_mul_f64 v[60:61], v[58:59], s[0:1]
	v_mul_f64 v[58:59], v[42:43], 0.5
	v_fmac_f64_e32 v[62:63], s[24:25], v[54:55]
	v_add_f64 v[58:59], v[62:63], -v[58:59]
	v_fmac_f64_e32 v[56:57], s[18:19], v[38:39]
	v_fmac_f64_e32 v[58:59], s[26:27], v[48:49]
	v_add_f64 v[58:59], v[58:59], -v[56:57]
	v_mov_b64_e32 v[62:63], v[58:59]
	v_fmac_f64_e32 v[62:63], 2.0, v[56:57]
	v_mul_f64 v[56:57], v[20:21], s[16:17]
	v_fma_f64 v[56:57], v[34:35], s[14:15], -v[56:57]
	v_add_f64 v[66:67], v[60:61], v[56:57]
	v_fma_f64 v[56:57], s[20:21], v[46:47], v[0:1]
	v_mul_f64 v[64:65], v[36:37], 0.5
	v_fmac_f64_e32 v[56:57], s[24:25], v[52:53]
	v_add_f64 v[48:49], v[50:51], v[48:49]
	v_add_f64 v[56:57], v[56:57], -v[64:65]
	v_add_f64 v[50:51], v[42:43], v[48:49]
	v_fmac_f64_e32 v[56:57], s[26:27], v[44:45]
	v_add_f64 v[6:7], v[6:7], v[50:51]
	v_add_f64 v[44:45], v[46:47], v[44:45]
	v_add_f64 v[6:7], v[10:11], v[6:7]
	v_add_f64 v[10:11], v[36:37], v[44:45]
	v_add_f64 v[4:5], v[4:5], v[10:11]
	v_add_f64 v[6:7], v[2:3], v[6:7]
	v_add_f64 v[4:5], v[8:9], v[4:5]
	v_add_f64 v[2:3], v[2:3], v[42:43]
	v_add_f64 v[8:9], v[54:55], v[48:49]
	v_fmac_f64_e32 v[2:3], -0.5, v[8:9]
	v_add_f64 v[8:9], v[22:23], v[38:39]
	v_add_f64 v[8:9], v[8:9], -v[40:41]
	v_fmac_f64_e32 v[2:3], s[22:23], v[8:9]
	v_mul_f64 v[22:23], v[8:9], s[0:1]
	v_mov_b64_e32 v[10:11], v[2:3]
	v_add_f64 v[4:5], v[0:1], v[4:5]
	v_fmac_f64_e32 v[10:11], 2.0, v[22:23]
	v_add_f64 v[8:9], v[20:21], v[32:33]
	v_add_f64 v[0:1], v[0:1], v[36:37]
	;; [unrolled: 1-line block ×3, first 2 shown]
	v_add_f64 v[8:9], v[8:9], -v[34:35]
	v_fmac_f64_e32 v[0:1], -0.5, v[22:23]
	v_fmac_f64_e32 v[66:67], s[18:19], v[32:33]
	v_fmac_f64_e32 v[0:1], s[0:1], v[8:9]
	v_add_f64 v[56:57], v[66:67], v[56:57]
	v_mul_f64 v[20:21], v[8:9], s[0:1]
	v_mov_b64_e32 v[8:9], v[0:1]
	v_mov_b64_e32 v[60:61], v[56:57]
	v_fmac_f64_e32 v[8:9], -2.0, v[20:21]
	v_lshlrev_b32_e32 v20, 4, v90
	v_fmac_f64_e32 v[60:61], -2.0, v[66:67]
	ds_write_b128 v20, v[4:7]
	ds_write_b128 v20, v[12:15] offset:16
	ds_write_b128 v20, v[16:19] offset:32
	;; [unrolled: 1-line block ×8, first 2 shown]
.LBB0_7:
	s_or_b64 exec, exec, s[6:7]
	v_mov_b32_e32 v0, 57
	v_mul_lo_u16_sdwa v0, v87, v0 dst_sel:DWORD dst_unused:UNUSED_PAD src0_sel:BYTE_0 src1_sel:DWORD
	v_lshrrev_b16_e32 v85, 9, v0
	v_mul_lo_u16_e32 v0, 9, v85
	v_sub_u16_e32 v0, v87, v0
	v_and_b32_e32 v88, 0xff, v0
	v_mul_u32_u24_e32 v0, 6, v88
	v_lshlrev_b32_e32 v32, 4, v0
	s_load_dwordx4 s[4:7], s[4:5], 0x0
	s_waitcnt lgkmcnt(0)
	; wave barrier
	s_waitcnt lgkmcnt(0)
	global_load_dwordx4 v[12:15], v32, s[10:11]
	global_load_dwordx4 v[8:11], v32, s[10:11] offset:16
	global_load_dwordx4 v[4:7], v32, s[10:11] offset:32
	;; [unrolled: 1-line block ×5, first 2 shown]
	ds_read_b128 v[32:35], v84
	ds_read_b128 v[36:39], v84 offset:1008
	ds_read_b128 v[40:43], v84 offset:2016
	;; [unrolled: 1-line block ×6, first 2 shown]
	s_mov_b32 s14, 0x37e14327
	s_mov_b32 s0, 0x36b3c0b5
	;; [unrolled: 1-line block ×20, first 2 shown]
	s_waitcnt lgkmcnt(0)
	; wave barrier
	s_waitcnt lgkmcnt(0)
	s_movk_i32 s33, 0x60
	s_waitcnt vmcnt(5)
	v_mul_f64 v[60:61], v[38:39], v[14:15]
	v_mul_f64 v[62:63], v[36:37], v[14:15]
	s_waitcnt vmcnt(4)
	v_mul_f64 v[64:65], v[42:43], v[10:11]
	s_waitcnt vmcnt(3)
	v_mul_f64 v[68:69], v[46:47], v[6:7]
	v_mul_f64 v[70:71], v[44:45], v[6:7]
	s_waitcnt vmcnt(1)
	v_mul_f64 v[76:77], v[54:55], v[22:23]
	s_waitcnt vmcnt(0)
	v_mul_f64 v[80:81], v[58:59], v[18:19]
	v_mul_f64 v[66:67], v[40:41], v[10:11]
	;; [unrolled: 1-line block ×5, first 2 shown]
	v_fma_f64 v[36:37], v[36:37], v[12:13], -v[60:61]
	v_fmac_f64_e32 v[62:63], v[38:39], v[12:13]
	v_fma_f64 v[38:39], v[40:41], v[8:9], -v[64:65]
	v_fma_f64 v[40:41], v[44:45], v[4:5], -v[68:69]
	v_fmac_f64_e32 v[70:71], v[46:47], v[4:5]
	v_fma_f64 v[44:45], v[52:53], v[20:21], -v[76:77]
	v_fma_f64 v[46:47], v[56:57], v[16:17], -v[80:81]
	v_mul_f64 v[74:75], v[48:49], v[2:3]
	v_fmac_f64_e32 v[66:67], v[42:43], v[8:9]
	v_fma_f64 v[42:43], v[48:49], v[0:1], -v[72:73]
	v_fmac_f64_e32 v[78:79], v[54:55], v[20:21]
	v_fmac_f64_e32 v[82:83], v[58:59], v[16:17]
	v_add_f64 v[48:49], v[36:37], v[46:47]
	v_add_f64 v[52:53], v[38:39], v[44:45]
	v_fmac_f64_e32 v[74:75], v[50:51], v[0:1]
	v_add_f64 v[50:51], v[62:63], v[82:83]
	v_add_f64 v[54:55], v[66:67], v[78:79]
	;; [unrolled: 1-line block ×4, first 2 shown]
	v_add_f64 v[36:37], v[36:37], -v[46:47]
	v_add_f64 v[46:47], v[62:63], -v[82:83]
	v_add_f64 v[58:59], v[70:71], v[74:75]
	v_add_f64 v[62:63], v[54:55], v[50:51]
	v_add_f64 v[64:65], v[52:53], -v[48:49]
	v_add_f64 v[48:49], v[48:49], -v[56:57]
	;; [unrolled: 1-line block ×3, first 2 shown]
	v_add_f64 v[56:57], v[56:57], v[60:61]
	v_add_f64 v[38:39], v[38:39], -v[44:45]
	v_add_f64 v[44:45], v[66:67], -v[78:79]
	;; [unrolled: 1-line block ×5, first 2 shown]
	v_add_f64 v[58:59], v[58:59], v[62:63]
	v_add_f64 v[32:33], v[32:33], v[56:57]
	v_add_f64 v[40:41], v[42:43], -v[40:41]
	v_add_f64 v[42:43], v[74:75], -v[70:71]
	v_add_f64 v[34:35], v[34:35], v[58:59]
	v_mov_b64_e32 v[76:77], v[32:33]
	v_add_f64 v[68:69], v[40:41], v[38:39]
	v_add_f64 v[70:71], v[42:43], v[44:45]
	v_add_f64 v[72:73], v[40:41], -v[38:39]
	v_add_f64 v[74:75], v[42:43], -v[44:45]
	;; [unrolled: 1-line block ×4, first 2 shown]
	v_mul_f64 v[48:49], v[48:49], s[14:15]
	v_mul_f64 v[50:51], v[50:51], s[14:15]
	;; [unrolled: 1-line block ×4, first 2 shown]
	v_fmac_f64_e32 v[76:77], s[28:29], v[56:57]
	v_mov_b64_e32 v[56:57], v[34:35]
	v_add_f64 v[40:41], v[36:37], -v[40:41]
	v_add_f64 v[42:43], v[46:47], -v[42:43]
	v_add_f64 v[36:37], v[68:69], v[36:37]
	v_add_f64 v[46:47], v[70:71], v[46:47]
	v_mul_f64 v[68:69], v[72:73], s[16:17]
	v_mul_f64 v[70:71], v[74:75], s[16:17]
	;; [unrolled: 1-line block ×4, first 2 shown]
	v_fmac_f64_e32 v[56:57], s[28:29], v[58:59]
	v_fma_f64 v[58:59], v[64:65], s[30:31], -v[60:61]
	v_fma_f64 v[60:61], v[66:67], s[30:31], -v[62:63]
	;; [unrolled: 1-line block ×3, first 2 shown]
	v_fmac_f64_e32 v[48:49], s[0:1], v[52:53]
	v_fma_f64 v[52:53], v[66:67], s[22:23], -v[50:51]
	v_fmac_f64_e32 v[50:51], s[0:1], v[54:55]
	v_fma_f64 v[54:55], v[38:39], s[18:19], -v[68:69]
	;; [unrolled: 2-line block ×4, first 2 shown]
	v_fma_f64 v[72:73], v[42:43], s[26:27], -v[74:75]
	v_add_f64 v[78:79], v[50:51], v[56:57]
	v_add_f64 v[50:51], v[60:61], v[56:57]
	v_mul_u32_u24_e32 v60, 63, v85
	v_add_f64 v[74:75], v[48:49], v[76:77]
	v_add_f64 v[48:49], v[58:59], v[76:77]
	;; [unrolled: 1-line block ×4, first 2 shown]
	v_fmac_f64_e32 v[68:69], s[24:25], v[36:37]
	v_fmac_f64_e32 v[70:71], s[24:25], v[46:47]
	v_fmac_f64_e32 v[54:55], s[24:25], v[36:37]
	v_fmac_f64_e32 v[64:65], s[24:25], v[46:47]
	v_fmac_f64_e32 v[66:67], s[24:25], v[36:37]
	v_fmac_f64_e32 v[72:73], s[24:25], v[46:47]
	v_add_lshl_u32 v91, v60, v88, 4
	v_add_f64 v[36:37], v[70:71], v[74:75]
	v_add_f64 v[38:39], v[78:79], -v[68:69]
	v_add_f64 v[40:41], v[72:73], v[58:59]
	v_add_f64 v[42:43], v[56:57], -v[66:67]
	v_add_f64 v[44:45], v[48:49], -v[64:65]
	v_add_f64 v[46:47], v[54:55], v[50:51]
	v_add_f64 v[48:49], v[64:65], v[48:49]
	v_add_f64 v[50:51], v[50:51], -v[54:55]
	v_add_f64 v[52:53], v[58:59], -v[72:73]
	v_add_f64 v[54:55], v[66:67], v[56:57]
	v_add_f64 v[56:57], v[74:75], -v[70:71]
	v_add_f64 v[58:59], v[68:69], v[78:79]
	ds_write_b128 v91, v[32:35]
	ds_write_b128 v91, v[36:39] offset:144
	ds_write_b128 v91, v[40:43] offset:288
	;; [unrolled: 1-line block ×6, first 2 shown]
	v_mov_b64_e32 v[32:33], s[10:11]
	v_mad_u64_u32 v[56:57], s[10:11], v87, s33, v[32:33]
	s_waitcnt lgkmcnt(0)
	; wave barrier
	s_waitcnt lgkmcnt(0)
	global_load_dwordx4 v[44:47], v[56:57], off offset:864
	global_load_dwordx4 v[40:43], v[56:57], off offset:880
	;; [unrolled: 1-line block ×6, first 2 shown]
	ds_read_b128 v[56:59], v84 offset:1008
	ds_read_b128 v[60:63], v84 offset:2016
	;; [unrolled: 1-line block ×5, first 2 shown]
	ds_read_b128 v[76:79], v84
	s_waitcnt vmcnt(5) lgkmcnt(5)
	v_mul_f64 v[80:81], v[58:59], v[46:47]
	v_fma_f64 v[80:81], v[56:57], v[44:45], -v[80:81]
	v_mul_f64 v[82:83], v[56:57], v[46:47]
	s_waitcnt vmcnt(4) lgkmcnt(4)
	v_mul_f64 v[56:57], v[62:63], v[42:43]
	v_fma_f64 v[88:89], v[60:61], v[40:41], -v[56:57]
	v_mul_f64 v[60:61], v[60:61], v[42:43]
	s_waitcnt vmcnt(3) lgkmcnt(3)
	v_mul_f64 v[56:57], v[66:67], v[38:39]
	v_fmac_f64_e32 v[60:61], v[62:63], v[40:41]
	v_fma_f64 v[62:63], v[64:65], v[36:37], -v[56:57]
	v_mul_f64 v[64:65], v[64:65], v[38:39]
	s_waitcnt vmcnt(2) lgkmcnt(2)
	v_mul_f64 v[56:57], v[70:71], v[34:35]
	v_fmac_f64_e32 v[82:83], v[58:59], v[44:45]
	v_fmac_f64_e32 v[64:65], v[66:67], v[36:37]
	v_fma_f64 v[66:67], v[68:69], v[32:33], -v[56:57]
	ds_read_b128 v[56:59], v84 offset:6048
	v_mul_f64 v[68:69], v[68:69], v[34:35]
	v_fmac_f64_e32 v[68:69], v[70:71], v[32:33]
	s_waitcnt vmcnt(1) lgkmcnt(2)
	v_mul_f64 v[70:71], v[74:75], v[54:55]
	v_fma_f64 v[70:71], v[72:73], v[52:53], -v[70:71]
	v_mul_f64 v[72:73], v[72:73], v[54:55]
	v_fmac_f64_e32 v[72:73], v[74:75], v[52:53]
	s_waitcnt vmcnt(0) lgkmcnt(0)
	v_mul_f64 v[74:75], v[58:59], v[50:51]
	v_fma_f64 v[74:75], v[56:57], v[48:49], -v[74:75]
	v_mul_f64 v[92:93], v[56:57], v[50:51]
	v_fmac_f64_e32 v[92:93], v[58:59], v[48:49]
	v_add_f64 v[94:95], v[80:81], v[74:75]
	v_add_f64 v[96:97], v[88:89], v[70:71]
	;; [unrolled: 1-line block ×9, first 2 shown]
	v_add_f64 v[70:71], v[88:89], -v[70:71]
	v_add_f64 v[60:61], v[60:61], -v[72:73]
	;; [unrolled: 1-line block ×3, first 2 shown]
	v_add_f64 v[108:109], v[106:107], v[56:57]
	v_add_f64 v[56:57], v[76:77], v[100:101]
	v_add_f64 v[74:75], v[80:81], -v[74:75]
	v_add_f64 v[76:77], v[82:83], -v[92:93]
	;; [unrolled: 1-line block ×4, first 2 shown]
	v_add_f64 v[58:59], v[78:79], v[108:109]
	v_add_f64 v[78:79], v[96:97], -v[94:95]
	v_add_f64 v[80:81], v[98:99], -v[96:97]
	v_add_f64 v[62:63], v[72:73], v[70:71]
	v_add_f64 v[70:71], v[70:71], -v[74:75]
	v_add_f64 v[96:97], v[60:61], -v[76:77]
	v_mul_f64 v[112:113], v[64:65], s[16:17]
	v_add_f64 v[94:95], v[94:95], -v[98:99]
	v_add_f64 v[98:99], v[102:103], -v[106:107]
	;; [unrolled: 1-line block ×4, first 2 shown]
	v_add_f64 v[66:67], v[68:69], v[60:61]
	v_add_f64 v[92:93], v[68:69], -v[60:61]
	v_mul_f64 v[60:61], v[80:81], s[0:1]
	v_fma_f64 v[114:115], v[70:71], s[18:19], -v[112:113]
	v_add_f64 v[102:103], v[74:75], -v[72:73]
	v_add_f64 v[68:69], v[76:77], -v[68:69]
	v_mul_f64 v[94:95], v[94:95], s[14:15]
	v_mul_f64 v[98:99], v[98:99], s[14:15]
	;; [unrolled: 1-line block ×4, first 2 shown]
	v_add_f64 v[104:105], v[62:63], v[74:75]
	v_add_f64 v[110:111], v[66:67], v[76:77]
	v_mul_f64 v[92:93], v[92:93], s[16:17]
	v_fma_f64 v[100:101], s[28:29], v[100:101], v[56:57]
	v_fma_f64 v[108:109], s[28:29], v[108:109], v[58:59]
	v_fma_f64 v[60:61], v[78:79], s[30:31], -v[60:61]
	v_mul_f64 v[62:63], v[88:89], s[0:1]
	v_fma_f64 v[74:75], v[78:79], s[22:23], -v[94:95]
	v_fma_f64 v[76:77], v[82:83], s[22:23], -v[98:99]
	;; [unrolled: 1-line block ×6, first 2 shown]
	v_add_f64 v[82:83], v[74:75], v[100:101]
	v_add_f64 v[96:97], v[76:77], v[108:109]
	v_fmac_f64_e32 v[70:71], s[24:25], v[104:105]
	v_fmac_f64_e32 v[78:79], s[24:25], v[110:111]
	v_add_f64 v[72:73], v[78:79], v[82:83]
	v_add_f64 v[74:75], v[96:97], -v[70:71]
	v_add_f64 v[76:77], v[82:83], -v[78:79]
	v_add_f64 v[78:79], v[70:71], v[96:97]
	v_fma_f64 v[70:71], s[0:1], v[80:81], v[94:95]
	v_fmac_f64_e32 v[98:99], s[0:1], v[88:89]
	v_fma_f64 v[82:83], s[20:21], v[102:103], v[112:113]
	v_fmac_f64_e32 v[92:93], s[20:21], v[68:69]
	v_add_f64 v[60:61], v[60:61], v[100:101]
	v_add_f64 v[62:63], v[62:63], v[108:109]
	v_fmac_f64_e32 v[114:115], s[24:25], v[104:105]
	v_fmac_f64_e32 v[116:117], s[24:25], v[110:111]
	v_add_f64 v[80:81], v[70:71], v[100:101]
	v_add_f64 v[88:89], v[98:99], v[108:109]
	v_fmac_f64_e32 v[82:83], s[24:25], v[104:105]
	v_fmac_f64_e32 v[92:93], s[24:25], v[110:111]
	v_add_f64 v[64:65], v[60:61], -v[116:117]
	v_add_f64 v[66:67], v[114:115], v[62:63]
	v_add_f64 v[60:61], v[116:117], v[60:61]
	v_add_f64 v[62:63], v[62:63], -v[114:115]
	v_add_f64 v[68:69], v[92:93], v[80:81]
	v_add_f64 v[70:71], v[88:89], -v[82:83]
	v_add_f64 v[80:81], v[80:81], -v[92:93]
	v_add_f64 v[82:83], v[82:83], v[88:89]
	ds_write_b128 v84, v[56:59]
	ds_write_b128 v84, v[68:71] offset:1008
	ds_write_b128 v84, v[72:75] offset:2016
	;; [unrolled: 1-line block ×6, first 2 shown]
	s_waitcnt lgkmcnt(0)
	; wave barrier
	s_waitcnt lgkmcnt(0)
	s_and_saveexec_b64 s[0:1], s[2:3]
	s_cbranch_execz .LBB0_9
; %bb.8:
	v_mov_b32_e32 v85, 0
	v_lshl_add_u64 v[88:89], s[8:9], 0, v[84:85]
	v_add_co_u32_e32 v96, vcc, 0x1000, v88
	ds_read_b128 v[92:95], v84
	s_nop 0
	v_addc_co_u32_e32 v97, vcc, 0, v89, vcc
	global_load_dwordx4 v[96:99], v[96:97], off offset:2960
	s_mov_b64 s[10:11], 0x1b90
	v_lshl_add_u64 v[104:105], v[88:89], 0, s[10:11]
	s_movk_i32 s10, 0x2000
	s_waitcnt vmcnt(0) lgkmcnt(0)
	v_mul_f64 v[100:101], v[94:95], v[98:99]
	v_mul_f64 v[102:103], v[92:93], v[98:99]
	v_fma_f64 v[100:101], v[92:93], v[96:97], -v[100:101]
	v_fmac_f64_e32 v[102:103], v[94:95], v[96:97]
	global_load_dwordx4 v[96:99], v[104:105], off offset:784
	ds_read_b128 v[92:95], v84 offset:784
	ds_write_b128 v84, v[100:103]
	s_waitcnt vmcnt(0) lgkmcnt(1)
	v_mul_f64 v[100:101], v[94:95], v[98:99]
	v_mul_f64 v[102:103], v[92:93], v[98:99]
	v_fma_f64 v[100:101], v[92:93], v[96:97], -v[100:101]
	v_fmac_f64_e32 v[102:103], v[94:95], v[96:97]
	global_load_dwordx4 v[96:99], v[104:105], off offset:1568
	ds_read_b128 v[92:95], v84 offset:1568
	ds_write_b128 v84, v[100:103] offset:784
	s_waitcnt vmcnt(0) lgkmcnt(1)
	v_mul_f64 v[100:101], v[94:95], v[98:99]
	v_mul_f64 v[102:103], v[92:93], v[98:99]
	v_fma_f64 v[100:101], v[92:93], v[96:97], -v[100:101]
	v_fmac_f64_e32 v[102:103], v[94:95], v[96:97]
	global_load_dwordx4 v[96:99], v[104:105], off offset:2352
	ds_read_b128 v[92:95], v84 offset:2352
	ds_write_b128 v84, v[100:103] offset:1568
	s_waitcnt vmcnt(0) lgkmcnt(1)
	v_mul_f64 v[100:101], v[94:95], v[98:99]
	v_mul_f64 v[102:103], v[92:93], v[98:99]
	v_fma_f64 v[100:101], v[92:93], v[96:97], -v[100:101]
	v_fmac_f64_e32 v[102:103], v[94:95], v[96:97]
	global_load_dwordx4 v[96:99], v[104:105], off offset:3136
	ds_read_b128 v[92:95], v84 offset:3136
	ds_write_b128 v84, v[100:103] offset:2352
	s_waitcnt vmcnt(0) lgkmcnt(1)
	v_mul_f64 v[100:101], v[94:95], v[98:99]
	v_mul_f64 v[102:103], v[92:93], v[98:99]
	v_fma_f64 v[100:101], v[92:93], v[96:97], -v[100:101]
	v_fmac_f64_e32 v[102:103], v[94:95], v[96:97]
	global_load_dwordx4 v[96:99], v[104:105], off offset:3920
	ds_read_b128 v[92:95], v84 offset:3920
	ds_write_b128 v84, v[100:103] offset:3136
	s_waitcnt vmcnt(0) lgkmcnt(1)
	v_mul_f64 v[100:101], v[94:95], v[98:99]
	v_mul_f64 v[102:103], v[92:93], v[98:99]
	v_fma_f64 v[100:101], v[92:93], v[96:97], -v[100:101]
	v_fmac_f64_e32 v[102:103], v[94:95], v[96:97]
	v_add_co_u32_e32 v96, vcc, s10, v88
	ds_read_b128 v[92:95], v84 offset:4704
	s_nop 0
	v_addc_co_u32_e32 v97, vcc, 0, v89, vcc
	global_load_dwordx4 v[96:99], v[96:97], off offset:3568
	s_movk_i32 s10, 0x3000
	v_add_co_u32_e32 v88, vcc, s10, v88
	ds_write_b128 v84, v[100:103] offset:3920
	s_nop 0
	v_addc_co_u32_e32 v89, vcc, 0, v89, vcc
	s_waitcnt vmcnt(0) lgkmcnt(1)
	v_mul_f64 v[100:101], v[94:95], v[98:99]
	v_mul_f64 v[102:103], v[92:93], v[98:99]
	v_fma_f64 v[100:101], v[92:93], v[96:97], -v[100:101]
	v_fmac_f64_e32 v[102:103], v[94:95], v[96:97]
	global_load_dwordx4 v[96:99], v[88:89], off offset:256
	ds_read_b128 v[92:95], v84 offset:5488
	ds_write_b128 v84, v[100:103] offset:4704
	s_waitcnt vmcnt(0) lgkmcnt(1)
	v_mul_f64 v[100:101], v[94:95], v[98:99]
	v_mul_f64 v[102:103], v[92:93], v[98:99]
	v_fma_f64 v[100:101], v[92:93], v[96:97], -v[100:101]
	v_fmac_f64_e32 v[102:103], v[94:95], v[96:97]
	global_load_dwordx4 v[96:99], v[88:89], off offset:1040
	ds_read_b128 v[92:95], v84 offset:6272
	ds_write_b128 v84, v[100:103] offset:5488
	s_waitcnt vmcnt(0) lgkmcnt(1)
	v_mul_f64 v[88:89], v[94:95], v[98:99]
	v_mul_f64 v[102:103], v[92:93], v[98:99]
	v_fma_f64 v[100:101], v[92:93], v[96:97], -v[88:89]
	v_fmac_f64_e32 v[102:103], v[94:95], v[96:97]
	ds_write_b128 v84, v[100:103] offset:6272
.LBB0_9:
	s_or_b64 exec, exec, s[0:1]
	s_waitcnt lgkmcnt(0)
	; wave barrier
	s_waitcnt lgkmcnt(0)
	s_and_saveexec_b64 s[0:1], s[2:3]
	s_cbranch_execz .LBB0_11
; %bb.10:
	ds_read_b128 v[56:59], v84
	ds_read_b128 v[68:71], v84 offset:784
	ds_read_b128 v[72:75], v84 offset:1568
	;; [unrolled: 1-line block ×8, first 2 shown]
.LBB0_11:
	s_or_b64 exec, exec, s[0:1]
	s_waitcnt lgkmcnt(0)
	; wave barrier
	s_waitcnt lgkmcnt(0)
	s_and_saveexec_b64 s[0:1], s[2:3]
	s_cbranch_execz .LBB0_13
; %bb.12:
	s_mov_b32 s10, 0x8c811c17
	s_mov_b32 s20, 0xa2cf5039
	v_add_f64 v[104:105], v[60:61], -v[76:77]
	s_mov_b32 s11, 0x3fef838b
	v_add_f64 v[106:107], v[74:75], v[30:31]
	s_mov_b32 s21, 0x3fe8836f
	s_mov_b32 s22, 0x7e0b738b
	v_add_f64 v[102:103], v[72:73], -v[28:29]
	v_mul_f64 v[92:93], v[104:105], s[10:11]
	s_mov_b32 s15, 0xbfe491b7
	s_mov_b32 s14, 0x523c161c
	;; [unrolled: 1-line block ×3, first 2 shown]
	v_fma_f64 v[94:95], s[20:21], v[106:107], v[58:59]
	v_add_f64 v[108:109], v[62:63], v[78:79]
	s_mov_b32 s23, 0x3fc63a1a
	v_add_f64 v[100:101], v[64:65], -v[80:81]
	v_fma_f64 v[92:93], v[102:103], s[14:15], -v[92:93]
	s_mov_b32 s17, 0x3febb67a
	s_mov_b32 s18, 0x748a0bf8
	v_fmac_f64_e32 v[94:95], s[22:23], v[108:109]
	v_add_f64 v[110:111], v[66:67], v[82:83]
	s_mov_b32 s24, 0x42522d1b
	v_add_f64 v[118:119], v[62:63], -v[78:79]
	v_add_f64 v[72:73], v[72:73], v[28:29]
	v_add_f64 v[88:89], v[68:69], -v[24:25]
	v_fmac_f64_e32 v[92:93], s[16:17], v[100:101]
	s_mov_b32 s19, 0x3fd5e3a8
	v_fmac_f64_e32 v[94:95], -0.5, v[110:111]
	v_add_f64 v[112:113], v[70:71], v[26:27]
	s_mov_b32 s25, 0xbfee11f6
	v_add_f64 v[114:115], v[70:71], -v[26:27]
	v_add_f64 v[116:117], v[74:75], -v[30:31]
	v_mul_f64 v[26:27], v[118:119], s[10:11]
	v_fma_f64 v[28:29], s[20:21], v[72:73], v[56:57]
	v_add_f64 v[120:121], v[60:61], v[76:77]
	v_fmac_f64_e32 v[92:93], s[18:19], v[88:89]
	v_fmac_f64_e32 v[94:95], s[24:25], v[112:113]
	v_add_f64 v[82:83], v[66:67], -v[82:83]
	v_fma_f64 v[26:27], v[116:117], s[14:15], -v[26:27]
	v_fmac_f64_e32 v[28:29], s[22:23], v[120:121]
	v_add_f64 v[80:81], v[64:65], v[80:81]
	v_add_f64 v[94:95], v[92:93], v[94:95]
	v_fmac_f64_e32 v[26:27], s[16:17], v[82:83]
	v_fmac_f64_e32 v[28:29], -0.5, v[80:81]
	v_add_f64 v[122:123], v[68:69], v[24:25]
	v_mov_b64_e32 v[98:99], v[94:95]
	v_fmac_f64_e32 v[26:27], s[18:19], v[114:115]
	v_fmac_f64_e32 v[28:29], s[24:25], v[122:123]
	v_fmac_f64_e32 v[98:99], -2.0, v[92:93]
	v_add_f64 v[92:93], v[28:29], -v[26:27]
	v_add_f64 v[28:29], v[106:107], v[112:113]
	v_add_f64 v[24:25], v[110:111], v[28:29]
	;; [unrolled: 1-line block ×3, first 2 shown]
	v_mov_b64_e32 v[96:97], v[92:93]
	v_add_f64 v[24:25], v[78:79], v[24:25]
	v_add_f64 v[64:65], v[72:73], v[122:123]
	v_fmac_f64_e32 v[96:97], 2.0, v[26:27]
	v_add_f64 v[26:27], v[58:59], v[24:25]
	v_add_f64 v[24:25], v[80:81], v[64:65]
	;; [unrolled: 1-line block ×4, first 2 shown]
	v_add_f64 v[60:61], v[30:31], -v[102:103]
	v_add_f64 v[30:31], v[58:59], v[110:111]
	v_add_f64 v[28:29], v[108:109], v[28:29]
	v_fmac_f64_e32 v[30:31], -0.5, v[28:29]
	v_mul_f64 v[66:67], v[60:61], s[16:17]
	v_fmac_f64_e32 v[30:31], s[16:17], v[60:61]
	v_add_f64 v[28:29], v[56:57], v[80:81]
	v_add_f64 v[60:61], v[120:121], v[64:65]
	v_fmac_f64_e32 v[28:29], -0.5, v[60:61]
	v_add_f64 v[60:61], v[118:119], v[114:115]
	v_add_f64 v[60:61], v[60:61], -v[116:117]
	s_mov_b32 s27, 0xbfebb67a
	s_mov_b32 s26, s16
	v_fmac_f64_e32 v[28:29], s[26:27], v[60:61]
	v_mov_b64_e32 v[62:63], v[30:31]
	v_mul_f64 v[64:65], v[60:61], s[16:17]
	v_mov_b64_e32 v[60:61], v[28:29]
	v_fmac_f64_e32 v[62:63], -2.0, v[66:67]
	v_fmac_f64_e32 v[60:61], 2.0, v[64:65]
	v_mul_f64 v[64:65], v[104:105], s[14:15]
	v_fma_f64 v[66:67], s[20:21], v[108:109], v[58:59]
	v_fmac_f64_e32 v[64:65], s[10:11], v[88:89]
	v_fmac_f64_e32 v[66:67], s[22:23], v[112:113]
	;; [unrolled: 1-line block ×3, first 2 shown]
	v_fmac_f64_e32 v[66:67], -0.5, v[110:111]
	v_fmac_f64_e32 v[64:65], s[18:19], v[102:103]
	v_fmac_f64_e32 v[66:67], s[24:25], v[106:107]
	v_add_f64 v[66:67], v[64:65], v[66:67]
	v_mov_b64_e32 v[70:71], v[66:67]
	v_fmac_f64_e32 v[70:71], -2.0, v[64:65]
	v_fma_f64 v[64:65], s[20:21], v[120:121], v[56:57]
	v_mul_f64 v[74:75], v[118:119], s[14:15]
	s_mov_b32 s15, 0x3fe491b7
	v_add_f64 v[24:25], v[76:77], v[24:25]
	v_fmac_f64_e32 v[64:65], s[22:23], v[122:123]
	v_fmac_f64_e32 v[74:75], s[10:11], v[114:115]
	v_mul_f64 v[76:77], v[88:89], s[14:15]
	v_fmac_f64_e32 v[58:59], s[20:21], v[112:113]
	v_fmac_f64_e32 v[64:65], -0.5, v[80:81]
	v_fmac_f64_e32 v[74:75], s[26:27], v[82:83]
	v_fmac_f64_e32 v[76:77], s[10:11], v[102:103]
	;; [unrolled: 1-line block ×6, first 2 shown]
	v_fmac_f64_e32 v[58:59], -0.5, v[110:111]
	v_add_f64 v[64:65], v[64:65], -v[74:75]
	v_fmac_f64_e32 v[76:77], s[18:19], v[104:105]
	v_fmac_f64_e32 v[58:59], s[24:25], v[108:109]
	v_mov_b64_e32 v[68:69], v[64:65]
	v_add_f64 v[58:59], v[76:77], v[58:59]
	v_fmac_f64_e32 v[68:69], 2.0, v[74:75]
	v_mov_b64_e32 v[74:75], v[58:59]
	v_add_f64 v[24:25], v[56:57], v[24:25]
	v_fmac_f64_e32 v[74:75], -2.0, v[76:77]
	v_fmac_f64_e32 v[56:57], s[20:21], v[122:123]
	v_mul_f64 v[76:77], v[114:115], s[14:15]
	v_fmac_f64_e32 v[56:57], s[22:23], v[72:73]
	v_fmac_f64_e32 v[76:77], s[10:11], v[116:117]
	v_fmac_f64_e32 v[56:57], -0.5, v[80:81]
	v_fmac_f64_e32 v[76:77], s[16:17], v[82:83]
	v_fmac_f64_e32 v[56:57], s[24:25], v[120:121]
	v_fmac_f64_e32 v[76:77], s[18:19], v[118:119]
	v_add_f64 v[56:57], v[56:57], -v[76:77]
	v_mov_b64_e32 v[72:73], v[56:57]
	v_fmac_f64_e32 v[72:73], 2.0, v[76:77]
	v_lshlrev_b32_e32 v76, 4, v90
	ds_write_b128 v76, v[24:27]
	ds_write_b128 v76, v[56:59] offset:16
	ds_write_b128 v76, v[64:67] offset:32
	ds_write_b128 v76, v[28:31] offset:48
	ds_write_b128 v76, v[92:95] offset:64
	ds_write_b128 v76, v[96:99] offset:80
	ds_write_b128 v76, v[60:63] offset:96
	ds_write_b128 v76, v[68:71] offset:112
	ds_write_b128 v76, v[72:75] offset:128
.LBB0_13:
	s_or_b64 exec, exec, s[0:1]
	s_waitcnt lgkmcnt(0)
	; wave barrier
	s_waitcnt lgkmcnt(0)
	ds_read_b128 v[24:27], v84
	ds_read_b128 v[28:31], v84 offset:1008
	ds_read_b128 v[56:59], v84 offset:2016
	;; [unrolled: 1-line block ×6, first 2 shown]
	s_waitcnt lgkmcnt(5)
	v_mul_f64 v[76:77], v[14:15], v[30:31]
	v_mul_f64 v[14:15], v[14:15], v[28:29]
	v_fmac_f64_e32 v[76:77], v[12:13], v[28:29]
	v_fma_f64 v[12:13], v[12:13], v[30:31], -v[14:15]
	s_waitcnt lgkmcnt(4)
	v_mul_f64 v[14:15], v[10:11], v[58:59]
	v_mul_f64 v[10:11], v[10:11], v[56:57]
	v_fmac_f64_e32 v[14:15], v[8:9], v[56:57]
	v_fma_f64 v[8:9], v[8:9], v[58:59], -v[10:11]
	;; [unrolled: 5-line block ×6, first 2 shown]
	v_add_f64 v[18:19], v[76:77], v[22:23]
	v_add_f64 v[28:29], v[12:13], v[16:17]
	v_add_f64 v[12:13], v[12:13], -v[16:17]
	v_add_f64 v[16:17], v[14:15], v[2:3]
	v_add_f64 v[30:31], v[8:9], v[20:21]
	v_add_f64 v[2:3], v[14:15], -v[2:3]
	v_add_f64 v[8:9], v[8:9], -v[20:21]
	v_add_f64 v[14:15], v[10:11], v[6:7]
	v_add_f64 v[20:21], v[4:5], v[0:1]
	v_add_f64 v[0:1], v[0:1], -v[4:5]
	v_add_f64 v[4:5], v[16:17], v[18:19]
	v_add_f64 v[6:7], v[6:7], -v[10:11]
	v_add_f64 v[10:11], v[30:31], v[28:29]
	v_add_f64 v[4:5], v[14:15], v[4:5]
	s_mov_b32 s16, 0xe976ee23
	v_add_f64 v[22:23], v[76:77], -v[22:23]
	v_add_f64 v[62:63], v[0:1], v[8:9]
	v_add_f64 v[64:65], v[6:7], -v[2:3]
	v_add_f64 v[66:67], v[0:1], -v[8:9]
	;; [unrolled: 1-line block ×3, first 2 shown]
	v_add_f64 v[10:11], v[20:21], v[10:11]
	v_add_f64 v[0:1], v[24:25], v[4:5]
	s_mov_b32 s10, 0x37e14327
	s_mov_b32 s0, 0x36b3c0b5
	;; [unrolled: 1-line block ×5, first 2 shown]
	v_add_f64 v[56:57], v[16:17], -v[18:19]
	v_add_f64 v[58:59], v[30:31], -v[28:29]
	;; [unrolled: 1-line block ×6, first 2 shown]
	v_add_f64 v[60:61], v[6:7], v[2:3]
	v_add_f64 v[70:71], v[2:3], -v[22:23]
	v_add_f64 v[8:9], v[8:9], -v[12:13]
	v_add_f64 v[2:3], v[26:27], v[10:11]
	s_mov_b32 s11, 0x3fe948f6
	s_mov_b32 s1, 0x3fac98ee
	v_mul_f64 v[26:27], v[64:65], s[16:17]
	s_mov_b32 s15, 0xbfebfeb5
	s_mov_b32 s19, 0xbff2aaaa
	v_mov_b64_e32 v[64:65], v[0:1]
	s_mov_b32 s20, 0x5476071b
	s_mov_b32 s24, 0xb247c609
	v_add_f64 v[6:7], v[22:23], -v[6:7]
	v_add_f64 v[14:15], v[60:61], v[22:23]
	v_add_f64 v[12:13], v[62:63], v[12:13]
	v_mul_f64 v[18:19], v[18:19], s[10:11]
	v_mul_f64 v[20:21], v[28:29], s[10:11]
	;; [unrolled: 1-line block ×7, first 2 shown]
	v_fmac_f64_e32 v[64:65], s[18:19], v[4:5]
	v_mov_b64_e32 v[4:5], v[2:3]
	s_mov_b32 s21, 0x3fe77f67
	s_mov_b32 s23, 0xbfe77f67
	;; [unrolled: 1-line block ×7, first 2 shown]
	v_fmac_f64_e32 v[4:5], s[18:19], v[10:11]
	v_fma_f64 v[10:11], v[56:57], s[20:21], -v[22:23]
	v_fma_f64 v[22:23], v[58:59], s[20:21], -v[24:25]
	;; [unrolled: 1-line block ×3, first 2 shown]
	v_fmac_f64_e32 v[18:19], s[0:1], v[16:17]
	v_fma_f64 v[16:17], v[58:59], s[22:23], -v[20:21]
	v_fmac_f64_e32 v[20:21], s[0:1], v[30:31]
	v_fma_f64 v[30:31], v[70:71], s[14:15], -v[26:27]
	;; [unrolled: 2-line block ×4, first 2 shown]
	v_fma_f64 v[60:61], v[68:69], s[28:29], -v[62:63]
	s_mov_b32 s27, 0xbfdc38aa
	v_add_f64 v[62:63], v[18:19], v[64:65]
	v_add_f64 v[66:67], v[20:21], v[4:5]
	;; [unrolled: 1-line block ×6, first 2 shown]
	v_fmac_f64_e32 v[26:27], s[26:27], v[14:15]
	v_fmac_f64_e32 v[28:29], s[26:27], v[12:13]
	;; [unrolled: 1-line block ×6, first 2 shown]
	v_add_f64 v[4:5], v[28:29], v[62:63]
	v_add_f64 v[6:7], v[66:67], -v[26:27]
	v_add_f64 v[8:9], v[60:61], v[22:23]
	v_add_f64 v[10:11], v[24:25], -v[58:59]
	v_add_f64 v[12:13], v[18:19], -v[56:57]
	v_add_f64 v[14:15], v[30:31], v[20:21]
	v_add_f64 v[16:17], v[56:57], v[18:19]
	v_add_f64 v[18:19], v[20:21], -v[30:31]
	v_add_f64 v[20:21], v[22:23], -v[60:61]
	v_add_f64 v[22:23], v[58:59], v[24:25]
	v_add_f64 v[24:25], v[62:63], -v[28:29]
	v_add_f64 v[26:27], v[26:27], v[66:67]
	s_waitcnt lgkmcnt(0)
	; wave barrier
	ds_write_b128 v91, v[0:3]
	ds_write_b128 v91, v[4:7] offset:144
	ds_write_b128 v91, v[8:11] offset:288
	;; [unrolled: 1-line block ×6, first 2 shown]
	s_waitcnt lgkmcnt(0)
	; wave barrier
	s_waitcnt lgkmcnt(0)
	ds_read_b128 v[0:3], v84
	ds_read_b128 v[4:7], v84 offset:1008
	ds_read_b128 v[8:11], v84 offset:2016
	ds_read_b128 v[12:15], v84 offset:3024
	ds_read_b128 v[16:19], v84 offset:4032
	ds_read_b128 v[20:23], v84 offset:5040
	ds_read_b128 v[24:27], v84 offset:6048
	s_waitcnt lgkmcnt(5)
	v_mul_f64 v[28:29], v[46:47], v[6:7]
	v_fmac_f64_e32 v[28:29], v[44:45], v[4:5]
	v_mul_f64 v[4:5], v[46:47], v[4:5]
	v_fma_f64 v[4:5], v[44:45], v[6:7], -v[4:5]
	s_waitcnt lgkmcnt(4)
	v_mul_f64 v[6:7], v[42:43], v[10:11]
	v_fmac_f64_e32 v[6:7], v[40:41], v[8:9]
	v_mul_f64 v[8:9], v[42:43], v[8:9]
	v_fma_f64 v[8:9], v[40:41], v[10:11], -v[8:9]
	;; [unrolled: 5-line block ×6, first 2 shown]
	v_add_f64 v[26:27], v[28:29], v[22:23]
	v_add_f64 v[30:31], v[4:5], v[24:25]
	v_add_f64 v[4:5], v[4:5], -v[24:25]
	v_add_f64 v[24:25], v[6:7], v[18:19]
	v_add_f64 v[22:23], v[28:29], -v[22:23]
	;; [unrolled: 2-line block ×6, first 2 shown]
	v_add_f64 v[16:17], v[28:29], v[30:31]
	v_add_f64 v[14:15], v[18:19], v[14:15]
	;; [unrolled: 1-line block ×4, first 2 shown]
	v_add_f64 v[32:33], v[24:25], -v[26:27]
	v_add_f64 v[34:35], v[28:29], -v[30:31]
	;; [unrolled: 1-line block ×6, first 2 shown]
	v_add_f64 v[36:37], v[10:11], v[6:7]
	v_add_f64 v[38:39], v[12:13], v[8:9]
	v_add_f64 v[40:41], v[10:11], -v[6:7]
	v_add_f64 v[42:43], v[12:13], -v[8:9]
	;; [unrolled: 1-line block ×4, first 2 shown]
	v_add_f64 v[2:3], v[2:3], v[16:17]
	v_mov_b64_e32 v[44:45], v[0:1]
	v_add_f64 v[10:11], v[22:23], -v[10:11]
	v_add_f64 v[12:13], v[4:5], -v[12:13]
	v_add_f64 v[18:19], v[36:37], v[22:23]
	v_add_f64 v[4:5], v[38:39], v[4:5]
	v_mul_f64 v[20:21], v[26:27], s[10:11]
	v_mul_f64 v[22:23], v[30:31], s[10:11]
	;; [unrolled: 1-line block ×8, first 2 shown]
	v_fmac_f64_e32 v[44:45], s[18:19], v[14:15]
	v_mov_b64_e32 v[14:15], v[2:3]
	v_fmac_f64_e32 v[14:15], s[18:19], v[16:17]
	v_fma_f64 v[16:17], s[0:1], v[24:25], v[20:21]
	v_fma_f64 v[24:25], v[32:33], s[20:21], -v[26:27]
	v_fma_f64 v[26:27], v[34:35], s[20:21], -v[30:31]
	;; [unrolled: 1-line block ×4, first 2 shown]
	v_fmac_f64_e32 v[22:23], s[0:1], v[28:29]
	v_fma_f64 v[28:29], s[24:25], v[10:11], v[36:37]
	v_fma_f64 v[32:33], v[6:7], s[14:15], -v[36:37]
	v_fma_f64 v[34:35], v[8:9], s[14:15], -v[38:39]
	v_fmac_f64_e32 v[38:39], s[24:25], v[12:13]
	v_fma_f64 v[36:37], v[10:11], s[28:29], -v[40:41]
	v_fma_f64 v[40:41], v[12:13], s[28:29], -v[42:43]
	v_add_f64 v[42:43], v[16:17], v[44:45]
	v_add_f64 v[46:47], v[22:23], v[14:15]
	v_add_f64 v[16:17], v[24:25], v[44:45]
	v_add_f64 v[22:23], v[26:27], v[14:15]
	v_add_f64 v[20:21], v[20:21], v[44:45]
	v_add_f64 v[24:25], v[30:31], v[14:15]
	v_fmac_f64_e32 v[28:29], s[26:27], v[18:19]
	v_fmac_f64_e32 v[38:39], s[26:27], v[4:5]
	;; [unrolled: 1-line block ×6, first 2 shown]
	v_add_f64 v[4:5], v[38:39], v[42:43]
	v_add_f64 v[6:7], v[46:47], -v[28:29]
	v_add_f64 v[8:9], v[40:41], v[20:21]
	v_add_f64 v[10:11], v[24:25], -v[36:37]
	v_add_f64 v[12:13], v[16:17], -v[34:35]
	v_add_f64 v[14:15], v[32:33], v[22:23]
	v_add_f64 v[16:17], v[34:35], v[16:17]
	v_add_f64 v[18:19], v[22:23], -v[32:33]
	v_add_f64 v[20:21], v[20:21], -v[40:41]
	v_add_f64 v[22:23], v[36:37], v[24:25]
	v_add_f64 v[24:25], v[42:43], -v[38:39]
	v_add_f64 v[26:27], v[28:29], v[46:47]
	ds_write_b128 v84, v[0:3]
	ds_write_b128 v84, v[4:7] offset:1008
	ds_write_b128 v84, v[8:11] offset:2016
	;; [unrolled: 1-line block ×6, first 2 shown]
	s_waitcnt lgkmcnt(0)
	; wave barrier
	s_waitcnt lgkmcnt(0)
	s_and_b64 exec, exec, s[2:3]
	s_cbranch_execz .LBB0_15
; %bb.14:
	global_load_dwordx4 v[0:3], v84, s[8:9]
	global_load_dwordx4 v[4:7], v84, s[8:9] offset:784
	global_load_dwordx4 v[8:11], v84, s[8:9] offset:1568
	;; [unrolled: 1-line block ×5, first 2 shown]
	v_mov_b32_e32 v85, 0
	v_mad_u64_u32 v[68:69], s[2:3], s4, v87, 0
	s_movk_i32 s2, 0x1000
	v_lshl_add_u64 v[24:25], s[8:9], 0, v[84:85]
	v_add_co_u32_e32 v60, vcc, s2, v24
	v_mad_u64_u32 v[66:67], s[0:1], s6, v86, 0
	s_nop 0
	v_addc_co_u32_e32 v61, vcc, 0, v25, vcc
	global_load_dwordx4 v[24:27], v[60:61], off offset:608
	ds_read_b128 v[28:31], v84
	ds_read_b128 v[32:35], v84 offset:784
	ds_read_b128 v[36:39], v84 offset:1568
	;; [unrolled: 1-line block ×6, first 2 shown]
	global_load_dwordx4 v[56:59], v[60:61], off offset:1392
	v_mov_b32_e32 v62, v67
	v_mad_u64_u32 v[62:63], s[2:3], s7, v86, v[62:63]
	v_mov_b32_e32 v67, v62
	global_load_dwordx4 v[60:63], v[60:61], off offset:2176
	v_mov_b32_e32 v70, v69
	v_mov_b32_e32 v64, s12
	;; [unrolled: 1-line block ×3, first 2 shown]
	v_mad_u64_u32 v[70:71], s[2:3], s5, v87, v[70:71]
	v_mov_b32_e32 v69, v70
	v_lshl_add_u64 v[64:65], v[66:67], 4, v[64:65]
	v_mov_b32_e32 v82, 0x310
	v_lshl_add_u64 v[64:65], v[68:69], 4, v[64:65]
	s_mul_i32 s6, s5, 0x310
	v_mad_u64_u32 v[66:67], s[2:3], s4, v82, v[64:65]
	v_add_u32_e32 v67, s6, v67
	v_mad_u64_u32 v[68:69], s[2:3], s4, v82, v[66:67]
	s_mov_b32 s0, 0x5bb804a5
	v_add_u32_e32 v69, s6, v69
	s_mov_b32 s1, 0x3f629372
	v_mad_u64_u32 v[70:71], s[2:3], s4, v82, v[68:69]
	v_add_u32_e32 v71, s6, v71
	s_waitcnt vmcnt(8) lgkmcnt(6)
	v_mul_f64 v[72:73], v[30:31], v[2:3]
	v_mul_f64 v[2:3], v[28:29], v[2:3]
	s_waitcnt vmcnt(6) lgkmcnt(4)
	v_mul_f64 v[76:77], v[38:39], v[10:11]
	v_mul_f64 v[74:75], v[34:35], v[6:7]
	;; [unrolled: 1-line block ×4, first 2 shown]
	s_waitcnt vmcnt(5) lgkmcnt(3)
	v_mul_f64 v[78:79], v[42:43], v[14:15]
	v_mul_f64 v[14:15], v[40:41], v[14:15]
	v_fmac_f64_e32 v[72:73], v[28:29], v[0:1]
	v_fma_f64 v[2:3], v[0:1], v[30:31], -v[2:3]
	v_fmac_f64_e32 v[76:77], v[36:37], v[8:9]
	s_waitcnt vmcnt(4) lgkmcnt(2)
	v_mul_f64 v[80:81], v[46:47], v[18:19]
	v_mul_f64 v[18:19], v[44:45], v[18:19]
	v_fmac_f64_e32 v[74:75], v[32:33], v[4:5]
	v_fma_f64 v[6:7], v[4:5], v[34:35], -v[6:7]
	v_fma_f64 v[10:11], v[8:9], v[38:39], -v[10:11]
	v_fmac_f64_e32 v[78:79], v[40:41], v[12:13]
	v_fma_f64 v[14:15], v[12:13], v[42:43], -v[14:15]
	v_mul_f64 v[0:1], v[72:73], s[0:1]
	v_mul_f64 v[2:3], v[2:3], s[0:1]
	;; [unrolled: 1-line block ×8, first 2 shown]
	global_store_dwordx4 v[64:65], v[0:3], off
	global_store_dwordx4 v[66:67], v[4:7], off
	;; [unrolled: 1-line block ×4, first 2 shown]
	v_fma_f64 v[0:1], v[16:17], v[46:47], -v[18:19]
	v_mad_u64_u32 v[8:9], s[2:3], s4, v82, v[70:71]
	v_mul_f64 v[30:31], v[0:1], s[0:1]
	v_add_u32_e32 v9, s6, v9
	s_waitcnt vmcnt(7) lgkmcnt(1)
	v_mul_f64 v[0:1], v[50:51], v[22:23]
	v_mul_f64 v[2:3], v[48:49], v[22:23]
	ds_read_b128 v[4:7], v84 offset:4704
	v_fmac_f64_e32 v[80:81], v[44:45], v[16:17]
	v_fmac_f64_e32 v[0:1], v[48:49], v[20:21]
	v_fma_f64 v[2:3], v[20:21], v[50:51], -v[2:3]
	v_mad_u64_u32 v[12:13], s[2:3], s4, v82, v[8:9]
	v_mul_f64 v[28:29], v[80:81], s[0:1]
	v_mul_f64 v[0:1], v[0:1], s[0:1]
	;; [unrolled: 1-line block ×3, first 2 shown]
	v_add_u32_e32 v13, s6, v13
	global_store_dwordx4 v[8:9], v[28:31], off
	global_store_dwordx4 v[12:13], v[0:3], off
	ds_read_b128 v[0:3], v84 offset:5488
	s_waitcnt vmcnt(8) lgkmcnt(1)
	v_mul_f64 v[8:9], v[6:7], v[26:27]
	v_fmac_f64_e32 v[8:9], v[4:5], v[24:25]
	v_mul_f64 v[4:5], v[4:5], v[26:27]
	v_fma_f64 v[4:5], v[24:25], v[6:7], -v[4:5]
	v_mul_f64 v[10:11], v[4:5], s[0:1]
	s_waitcnt vmcnt(7) lgkmcnt(0)
	v_mul_f64 v[4:5], v[2:3], v[58:59]
	v_mad_u64_u32 v[12:13], s[2:3], s4, v82, v[12:13]
	v_fmac_f64_e32 v[4:5], v[0:1], v[56:57]
	v_mul_f64 v[0:1], v[0:1], v[58:59]
	v_mul_f64 v[8:9], v[8:9], s[0:1]
	v_add_u32_e32 v13, s6, v13
	v_fma_f64 v[0:1], v[56:57], v[2:3], -v[0:1]
	global_store_dwordx4 v[12:13], v[8:11], off
	v_mul_f64 v[6:7], v[0:1], s[0:1]
	s_waitcnt vmcnt(7)
	v_mul_f64 v[0:1], v[54:55], v[62:63]
	v_mad_u64_u32 v[8:9], s[2:3], s4, v82, v[12:13]
	v_mul_f64 v[2:3], v[52:53], v[62:63]
	v_mul_f64 v[4:5], v[4:5], s[0:1]
	v_add_u32_e32 v9, s6, v9
	v_fmac_f64_e32 v[0:1], v[52:53], v[60:61]
	v_fma_f64 v[2:3], v[60:61], v[54:55], -v[2:3]
	global_store_dwordx4 v[8:9], v[4:7], off
	v_mul_f64 v[0:1], v[0:1], s[0:1]
	v_mul_f64 v[2:3], v[2:3], s[0:1]
	v_mad_u64_u32 v[4:5], s[0:1], s4, v82, v[8:9]
	v_add_u32_e32 v5, s6, v5
	global_store_dwordx4 v[4:5], v[0:3], off
.LBB0_15:
	s_endpgm
	.section	.rodata,"a",@progbits
	.p2align	6, 0x0
	.amdhsa_kernel bluestein_single_fwd_len441_dim1_dp_op_CI_CI
		.amdhsa_group_segment_fixed_size 7056
		.amdhsa_private_segment_fixed_size 0
		.amdhsa_kernarg_size 104
		.amdhsa_user_sgpr_count 2
		.amdhsa_user_sgpr_dispatch_ptr 0
		.amdhsa_user_sgpr_queue_ptr 0
		.amdhsa_user_sgpr_kernarg_segment_ptr 1
		.amdhsa_user_sgpr_dispatch_id 0
		.amdhsa_user_sgpr_kernarg_preload_length 0
		.amdhsa_user_sgpr_kernarg_preload_offset 0
		.amdhsa_user_sgpr_private_segment_size 0
		.amdhsa_uses_dynamic_stack 0
		.amdhsa_enable_private_segment 0
		.amdhsa_system_sgpr_workgroup_id_x 1
		.amdhsa_system_sgpr_workgroup_id_y 0
		.amdhsa_system_sgpr_workgroup_id_z 0
		.amdhsa_system_sgpr_workgroup_info 0
		.amdhsa_system_vgpr_workitem_id 0
		.amdhsa_next_free_vgpr 124
		.amdhsa_next_free_sgpr 34
		.amdhsa_accum_offset 124
		.amdhsa_reserve_vcc 1
		.amdhsa_float_round_mode_32 0
		.amdhsa_float_round_mode_16_64 0
		.amdhsa_float_denorm_mode_32 3
		.amdhsa_float_denorm_mode_16_64 3
		.amdhsa_dx10_clamp 1
		.amdhsa_ieee_mode 1
		.amdhsa_fp16_overflow 0
		.amdhsa_tg_split 0
		.amdhsa_exception_fp_ieee_invalid_op 0
		.amdhsa_exception_fp_denorm_src 0
		.amdhsa_exception_fp_ieee_div_zero 0
		.amdhsa_exception_fp_ieee_overflow 0
		.amdhsa_exception_fp_ieee_underflow 0
		.amdhsa_exception_fp_ieee_inexact 0
		.amdhsa_exception_int_div_zero 0
	.end_amdhsa_kernel
	.text
.Lfunc_end0:
	.size	bluestein_single_fwd_len441_dim1_dp_op_CI_CI, .Lfunc_end0-bluestein_single_fwd_len441_dim1_dp_op_CI_CI
                                        ; -- End function
	.section	.AMDGPU.csdata,"",@progbits
; Kernel info:
; codeLenInByte = 8516
; NumSgprs: 40
; NumVgprs: 124
; NumAgprs: 0
; TotalNumVgprs: 124
; ScratchSize: 0
; MemoryBound: 0
; FloatMode: 240
; IeeeMode: 1
; LDSByteSize: 7056 bytes/workgroup (compile time only)
; SGPRBlocks: 4
; VGPRBlocks: 15
; NumSGPRsForWavesPerEU: 40
; NumVGPRsForWavesPerEU: 124
; AccumOffset: 124
; Occupancy: 4
; WaveLimiterHint : 1
; COMPUTE_PGM_RSRC2:SCRATCH_EN: 0
; COMPUTE_PGM_RSRC2:USER_SGPR: 2
; COMPUTE_PGM_RSRC2:TRAP_HANDLER: 0
; COMPUTE_PGM_RSRC2:TGID_X_EN: 1
; COMPUTE_PGM_RSRC2:TGID_Y_EN: 0
; COMPUTE_PGM_RSRC2:TGID_Z_EN: 0
; COMPUTE_PGM_RSRC2:TIDIG_COMP_CNT: 0
; COMPUTE_PGM_RSRC3_GFX90A:ACCUM_OFFSET: 30
; COMPUTE_PGM_RSRC3_GFX90A:TG_SPLIT: 0
	.text
	.p2alignl 6, 3212836864
	.fill 256, 4, 3212836864
	.type	__hip_cuid_19fcdeeb4870f90c,@object ; @__hip_cuid_19fcdeeb4870f90c
	.section	.bss,"aw",@nobits
	.globl	__hip_cuid_19fcdeeb4870f90c
__hip_cuid_19fcdeeb4870f90c:
	.byte	0                               ; 0x0
	.size	__hip_cuid_19fcdeeb4870f90c, 1

	.ident	"AMD clang version 19.0.0git (https://github.com/RadeonOpenCompute/llvm-project roc-6.4.0 25133 c7fe45cf4b819c5991fe208aaa96edf142730f1d)"
	.section	".note.GNU-stack","",@progbits
	.addrsig
	.addrsig_sym __hip_cuid_19fcdeeb4870f90c
	.amdgpu_metadata
---
amdhsa.kernels:
  - .agpr_count:     0
    .args:
      - .actual_access:  read_only
        .address_space:  global
        .offset:         0
        .size:           8
        .value_kind:     global_buffer
      - .actual_access:  read_only
        .address_space:  global
        .offset:         8
        .size:           8
        .value_kind:     global_buffer
      - .actual_access:  read_only
        .address_space:  global
        .offset:         16
        .size:           8
        .value_kind:     global_buffer
      - .actual_access:  read_only
        .address_space:  global
        .offset:         24
        .size:           8
        .value_kind:     global_buffer
      - .actual_access:  read_only
        .address_space:  global
        .offset:         32
        .size:           8
        .value_kind:     global_buffer
      - .offset:         40
        .size:           8
        .value_kind:     by_value
      - .address_space:  global
        .offset:         48
        .size:           8
        .value_kind:     global_buffer
      - .address_space:  global
        .offset:         56
        .size:           8
        .value_kind:     global_buffer
      - .address_space:  global
        .offset:         64
        .size:           8
        .value_kind:     global_buffer
      - .address_space:  global
        .offset:         72
        .size:           8
        .value_kind:     global_buffer
      - .offset:         80
        .size:           4
        .value_kind:     by_value
      - .address_space:  global
        .offset:         88
        .size:           8
        .value_kind:     global_buffer
      - .address_space:  global
        .offset:         96
        .size:           8
        .value_kind:     global_buffer
    .group_segment_fixed_size: 7056
    .kernarg_segment_align: 8
    .kernarg_segment_size: 104
    .language:       OpenCL C
    .language_version:
      - 2
      - 0
    .max_flat_workgroup_size: 63
    .name:           bluestein_single_fwd_len441_dim1_dp_op_CI_CI
    .private_segment_fixed_size: 0
    .sgpr_count:     40
    .sgpr_spill_count: 0
    .symbol:         bluestein_single_fwd_len441_dim1_dp_op_CI_CI.kd
    .uniform_work_group_size: 1
    .uses_dynamic_stack: false
    .vgpr_count:     124
    .vgpr_spill_count: 0
    .wavefront_size: 64
amdhsa.target:   amdgcn-amd-amdhsa--gfx950
amdhsa.version:
  - 1
  - 2
...

	.end_amdgpu_metadata
